;; amdgpu-corpus repo=ROCm/rocFFT kind=compiled arch=gfx1201 opt=O3
	.text
	.amdgcn_target "amdgcn-amd-amdhsa--gfx1201"
	.amdhsa_code_object_version 6
	.protected	fft_rtc_fwd_len1536_factors_16_16_6_wgs_256_tpt_256_halfLds_sp_op_CI_CI_unitstride_sbrr_dirReg ; -- Begin function fft_rtc_fwd_len1536_factors_16_16_6_wgs_256_tpt_256_halfLds_sp_op_CI_CI_unitstride_sbrr_dirReg
	.globl	fft_rtc_fwd_len1536_factors_16_16_6_wgs_256_tpt_256_halfLds_sp_op_CI_CI_unitstride_sbrr_dirReg
	.p2align	8
	.type	fft_rtc_fwd_len1536_factors_16_16_6_wgs_256_tpt_256_halfLds_sp_op_CI_CI_unitstride_sbrr_dirReg,@function
fft_rtc_fwd_len1536_factors_16_16_6_wgs_256_tpt_256_halfLds_sp_op_CI_CI_unitstride_sbrr_dirReg: ; @fft_rtc_fwd_len1536_factors_16_16_6_wgs_256_tpt_256_halfLds_sp_op_CI_CI_unitstride_sbrr_dirReg
; %bb.0:
	s_clause 0x2
	s_load_b128 s[8:11], s[0:1], 0x0
	s_load_b128 s[4:7], s[0:1], 0x58
	;; [unrolled: 1-line block ×3, first 2 shown]
	v_mov_b32_e32 v1, 0
	v_mov_b32_e32 v9, 0
	v_dual_mov_b32 v10, 0 :: v_dual_mov_b32 v3, ttmp9
	s_mov_b32 s3, 0
	s_delay_alu instid0(VALU_DEP_3) | instskip(SKIP_2) | instid1(VALU_DEP_1)
	v_mov_b32_e32 v4, v1
	s_wait_kmcnt 0x0
	v_cmp_lt_u64_e64 s2, s[10:11], 2
	s_and_b32 vcc_lo, exec_lo, s2
	s_cbranch_vccnz .LBB0_8
; %bb.1:
	s_load_b64 s[20:21], s[0:1], 0x10
	v_mov_b32_e32 v9, 0
	v_mov_b32_e32 v10, 0
	s_delay_alu instid0(VALU_DEP_2)
	v_mov_b32_e32 v5, v9
	s_add_nc_u64 s[16:17], s[14:15], 8
	s_add_nc_u64 s[18:19], s[12:13], 8
	s_mov_b64 s[22:23], 1
	v_mov_b32_e32 v6, v10
	s_wait_kmcnt 0x0
	s_add_nc_u64 s[20:21], s[20:21], 8
.LBB0_2:                                ; =>This Inner Loop Header: Depth=1
	s_load_b64 s[24:25], s[20:21], 0x0
                                        ; implicit-def: $vgpr7_vgpr8
	s_mov_b32 s2, exec_lo
	s_wait_kmcnt 0x0
	v_or_b32_e32 v2, s25, v4
	s_delay_alu instid0(VALU_DEP_1)
	v_cmpx_ne_u64_e32 0, v[1:2]
	s_wait_alu 0xfffe
	s_xor_b32 s26, exec_lo, s2
	s_cbranch_execz .LBB0_4
; %bb.3:                                ;   in Loop: Header=BB0_2 Depth=1
	s_cvt_f32_u32 s2, s24
	s_cvt_f32_u32 s27, s25
	s_sub_nc_u64 s[30:31], 0, s[24:25]
	s_wait_alu 0xfffe
	s_delay_alu instid0(SALU_CYCLE_1) | instskip(SKIP_1) | instid1(SALU_CYCLE_2)
	s_fmamk_f32 s2, s27, 0x4f800000, s2
	s_wait_alu 0xfffe
	v_s_rcp_f32 s2, s2
	s_delay_alu instid0(TRANS32_DEP_1) | instskip(SKIP_1) | instid1(SALU_CYCLE_2)
	s_mul_f32 s2, s2, 0x5f7ffffc
	s_wait_alu 0xfffe
	s_mul_f32 s27, s2, 0x2f800000
	s_wait_alu 0xfffe
	s_delay_alu instid0(SALU_CYCLE_2) | instskip(SKIP_1) | instid1(SALU_CYCLE_2)
	s_trunc_f32 s27, s27
	s_wait_alu 0xfffe
	s_fmamk_f32 s2, s27, 0xcf800000, s2
	s_cvt_u32_f32 s29, s27
	s_wait_alu 0xfffe
	s_delay_alu instid0(SALU_CYCLE_1) | instskip(SKIP_1) | instid1(SALU_CYCLE_2)
	s_cvt_u32_f32 s28, s2
	s_wait_alu 0xfffe
	s_mul_u64 s[34:35], s[30:31], s[28:29]
	s_wait_alu 0xfffe
	s_mul_hi_u32 s37, s28, s35
	s_mul_i32 s36, s28, s35
	s_mul_hi_u32 s2, s28, s34
	s_mul_i32 s33, s29, s34
	s_wait_alu 0xfffe
	s_add_nc_u64 s[36:37], s[2:3], s[36:37]
	s_mul_hi_u32 s27, s29, s34
	s_mul_hi_u32 s38, s29, s35
	s_add_co_u32 s2, s36, s33
	s_wait_alu 0xfffe
	s_add_co_ci_u32 s2, s37, s27
	s_mul_i32 s34, s29, s35
	s_add_co_ci_u32 s35, s38, 0
	s_wait_alu 0xfffe
	s_add_nc_u64 s[34:35], s[2:3], s[34:35]
	s_wait_alu 0xfffe
	v_add_co_u32 v2, s2, s28, s34
	s_delay_alu instid0(VALU_DEP_1) | instskip(SKIP_1) | instid1(VALU_DEP_1)
	s_cmp_lg_u32 s2, 0
	s_add_co_ci_u32 s29, s29, s35
	v_readfirstlane_b32 s28, v2
	s_wait_alu 0xfffe
	s_delay_alu instid0(VALU_DEP_1)
	s_mul_u64 s[30:31], s[30:31], s[28:29]
	s_wait_alu 0xfffe
	s_mul_hi_u32 s35, s28, s31
	s_mul_i32 s34, s28, s31
	s_mul_hi_u32 s2, s28, s30
	s_mul_i32 s33, s29, s30
	s_wait_alu 0xfffe
	s_add_nc_u64 s[34:35], s[2:3], s[34:35]
	s_mul_hi_u32 s27, s29, s30
	s_mul_hi_u32 s28, s29, s31
	s_wait_alu 0xfffe
	s_add_co_u32 s2, s34, s33
	s_add_co_ci_u32 s2, s35, s27
	s_mul_i32 s30, s29, s31
	s_add_co_ci_u32 s31, s28, 0
	s_wait_alu 0xfffe
	s_add_nc_u64 s[30:31], s[2:3], s[30:31]
	s_wait_alu 0xfffe
	v_add_co_u32 v2, s2, v2, s30
	s_delay_alu instid0(VALU_DEP_1) | instskip(SKIP_1) | instid1(VALU_DEP_1)
	s_cmp_lg_u32 s2, 0
	s_add_co_ci_u32 s2, s29, s31
	v_mul_hi_u32 v15, v3, v2
	s_wait_alu 0xfffe
	v_mad_co_u64_u32 v[7:8], null, v3, s2, 0
	v_mad_co_u64_u32 v[11:12], null, v4, v2, 0
	;; [unrolled: 1-line block ×3, first 2 shown]
	s_delay_alu instid0(VALU_DEP_3) | instskip(SKIP_1) | instid1(VALU_DEP_4)
	v_add_co_u32 v2, vcc_lo, v15, v7
	s_wait_alu 0xfffd
	v_add_co_ci_u32_e32 v7, vcc_lo, 0, v8, vcc_lo
	s_delay_alu instid0(VALU_DEP_2) | instskip(SKIP_1) | instid1(VALU_DEP_2)
	v_add_co_u32 v2, vcc_lo, v2, v11
	s_wait_alu 0xfffd
	v_add_co_ci_u32_e32 v2, vcc_lo, v7, v12, vcc_lo
	s_wait_alu 0xfffd
	v_add_co_ci_u32_e32 v7, vcc_lo, 0, v14, vcc_lo
	s_delay_alu instid0(VALU_DEP_2) | instskip(SKIP_1) | instid1(VALU_DEP_2)
	v_add_co_u32 v2, vcc_lo, v2, v13
	s_wait_alu 0xfffd
	v_add_co_ci_u32_e32 v11, vcc_lo, 0, v7, vcc_lo
	s_delay_alu instid0(VALU_DEP_2) | instskip(SKIP_1) | instid1(VALU_DEP_3)
	v_mul_lo_u32 v12, s25, v2
	v_mad_co_u64_u32 v[7:8], null, s24, v2, 0
	v_mul_lo_u32 v13, s24, v11
	s_delay_alu instid0(VALU_DEP_2) | instskip(NEXT) | instid1(VALU_DEP_2)
	v_sub_co_u32 v7, vcc_lo, v3, v7
	v_add3_u32 v8, v8, v13, v12
	s_delay_alu instid0(VALU_DEP_1) | instskip(SKIP_1) | instid1(VALU_DEP_1)
	v_sub_nc_u32_e32 v12, v4, v8
	s_wait_alu 0xfffd
	v_subrev_co_ci_u32_e64 v12, s2, s25, v12, vcc_lo
	v_add_co_u32 v13, s2, v2, 2
	s_wait_alu 0xf1ff
	v_add_co_ci_u32_e64 v14, s2, 0, v11, s2
	v_sub_co_u32 v15, s2, v7, s24
	v_sub_co_ci_u32_e32 v8, vcc_lo, v4, v8, vcc_lo
	s_wait_alu 0xf1ff
	v_subrev_co_ci_u32_e64 v12, s2, 0, v12, s2
	s_delay_alu instid0(VALU_DEP_3) | instskip(NEXT) | instid1(VALU_DEP_3)
	v_cmp_le_u32_e32 vcc_lo, s24, v15
	v_cmp_eq_u32_e64 s2, s25, v8
	s_wait_alu 0xfffd
	v_cndmask_b32_e64 v15, 0, -1, vcc_lo
	v_cmp_le_u32_e32 vcc_lo, s25, v12
	s_wait_alu 0xfffd
	v_cndmask_b32_e64 v16, 0, -1, vcc_lo
	v_cmp_le_u32_e32 vcc_lo, s24, v7
	;; [unrolled: 3-line block ×3, first 2 shown]
	s_wait_alu 0xfffd
	v_cndmask_b32_e64 v17, 0, -1, vcc_lo
	v_cmp_eq_u32_e32 vcc_lo, s25, v12
	s_wait_alu 0xf1ff
	s_delay_alu instid0(VALU_DEP_2)
	v_cndmask_b32_e64 v7, v17, v7, s2
	s_wait_alu 0xfffd
	v_cndmask_b32_e32 v12, v16, v15, vcc_lo
	v_add_co_u32 v15, vcc_lo, v2, 1
	s_wait_alu 0xfffd
	v_add_co_ci_u32_e32 v16, vcc_lo, 0, v11, vcc_lo
	s_delay_alu instid0(VALU_DEP_3) | instskip(SKIP_2) | instid1(VALU_DEP_3)
	v_cmp_ne_u32_e32 vcc_lo, 0, v12
	s_wait_alu 0xfffd
	v_cndmask_b32_e32 v12, v15, v13, vcc_lo
	v_cndmask_b32_e32 v8, v16, v14, vcc_lo
	v_cmp_ne_u32_e32 vcc_lo, 0, v7
	s_wait_alu 0xfffd
	s_delay_alu instid0(VALU_DEP_3) | instskip(NEXT) | instid1(VALU_DEP_3)
	v_cndmask_b32_e32 v7, v2, v12, vcc_lo
	v_cndmask_b32_e32 v8, v11, v8, vcc_lo
.LBB0_4:                                ;   in Loop: Header=BB0_2 Depth=1
	s_wait_alu 0xfffe
	s_and_not1_saveexec_b32 s2, s26
	s_cbranch_execz .LBB0_6
; %bb.5:                                ;   in Loop: Header=BB0_2 Depth=1
	v_cvt_f32_u32_e32 v2, s24
	s_sub_co_i32 s26, 0, s24
	s_delay_alu instid0(VALU_DEP_1) | instskip(NEXT) | instid1(TRANS32_DEP_1)
	v_rcp_iflag_f32_e32 v2, v2
	v_mul_f32_e32 v2, 0x4f7ffffe, v2
	s_delay_alu instid0(VALU_DEP_1) | instskip(SKIP_1) | instid1(VALU_DEP_1)
	v_cvt_u32_f32_e32 v2, v2
	s_wait_alu 0xfffe
	v_mul_lo_u32 v7, s26, v2
	s_delay_alu instid0(VALU_DEP_1) | instskip(NEXT) | instid1(VALU_DEP_1)
	v_mul_hi_u32 v7, v2, v7
	v_add_nc_u32_e32 v2, v2, v7
	s_delay_alu instid0(VALU_DEP_1) | instskip(NEXT) | instid1(VALU_DEP_1)
	v_mul_hi_u32 v2, v3, v2
	v_mul_lo_u32 v7, v2, s24
	v_add_nc_u32_e32 v8, 1, v2
	s_delay_alu instid0(VALU_DEP_2) | instskip(NEXT) | instid1(VALU_DEP_1)
	v_sub_nc_u32_e32 v7, v3, v7
	v_subrev_nc_u32_e32 v11, s24, v7
	v_cmp_le_u32_e32 vcc_lo, s24, v7
	s_wait_alu 0xfffd
	s_delay_alu instid0(VALU_DEP_2) | instskip(NEXT) | instid1(VALU_DEP_1)
	v_dual_cndmask_b32 v7, v7, v11 :: v_dual_cndmask_b32 v2, v2, v8
	v_cmp_le_u32_e32 vcc_lo, s24, v7
	s_delay_alu instid0(VALU_DEP_2) | instskip(SKIP_1) | instid1(VALU_DEP_1)
	v_add_nc_u32_e32 v8, 1, v2
	s_wait_alu 0xfffd
	v_dual_cndmask_b32 v7, v2, v8 :: v_dual_mov_b32 v8, v1
.LBB0_6:                                ;   in Loop: Header=BB0_2 Depth=1
	s_wait_alu 0xfffe
	s_or_b32 exec_lo, exec_lo, s2
	s_delay_alu instid0(VALU_DEP_1) | instskip(NEXT) | instid1(VALU_DEP_2)
	v_mul_lo_u32 v2, v8, s24
	v_mul_lo_u32 v13, v7, s25
	s_load_b64 s[26:27], s[18:19], 0x0
	v_mad_co_u64_u32 v[11:12], null, v7, s24, 0
	s_load_b64 s[24:25], s[16:17], 0x0
	s_add_nc_u64 s[22:23], s[22:23], 1
	s_add_nc_u64 s[16:17], s[16:17], 8
	s_wait_alu 0xfffe
	v_cmp_ge_u64_e64 s2, s[22:23], s[10:11]
	s_add_nc_u64 s[18:19], s[18:19], 8
	s_add_nc_u64 s[20:21], s[20:21], 8
	v_add3_u32 v2, v12, v13, v2
	v_sub_co_u32 v3, vcc_lo, v3, v11
	s_wait_alu 0xfffd
	s_delay_alu instid0(VALU_DEP_2) | instskip(SKIP_2) | instid1(VALU_DEP_1)
	v_sub_co_ci_u32_e32 v2, vcc_lo, v4, v2, vcc_lo
	s_and_b32 vcc_lo, exec_lo, s2
	s_wait_kmcnt 0x0
	v_mul_lo_u32 v4, s26, v2
	v_mul_lo_u32 v11, s27, v3
	v_mad_co_u64_u32 v[9:10], null, s26, v3, v[9:10]
	v_mul_lo_u32 v2, s24, v2
	v_mul_lo_u32 v12, s25, v3
	v_mad_co_u64_u32 v[5:6], null, s24, v3, v[5:6]
	s_delay_alu instid0(VALU_DEP_4) | instskip(NEXT) | instid1(VALU_DEP_2)
	v_add3_u32 v10, v11, v10, v4
	v_add3_u32 v6, v12, v6, v2
	s_wait_alu 0xfffe
	s_cbranch_vccnz .LBB0_9
; %bb.7:                                ;   in Loop: Header=BB0_2 Depth=1
	v_dual_mov_b32 v3, v7 :: v_dual_mov_b32 v4, v8
	s_branch .LBB0_2
.LBB0_8:
	v_dual_mov_b32 v5, v9 :: v_dual_mov_b32 v6, v10
	v_dual_mov_b32 v8, v4 :: v_dual_mov_b32 v7, v3
.LBB0_9:
	s_load_b64 s[0:1], s[0:1], 0x28
	s_lshl_b64 s[10:11], s[10:11], 3
	v_dual_mov_b32 v2, 0 :: v_dual_mov_b32 v41, 0
	s_wait_alu 0xfffe
	s_add_nc_u64 s[2:3], s[14:15], s[10:11]
	v_dual_mov_b32 v1, 0 :: v_dual_mov_b32 v18, 0
	s_load_b64 s[2:3], s[2:3], 0x0
	v_dual_mov_b32 v19, 0 :: v_dual_mov_b32 v22, 0
	v_dual_mov_b32 v23, 0 :: v_dual_mov_b32 v16, 0
	;; [unrolled: 1-line block ×6, first 2 shown]
	s_wait_kmcnt 0x0
	v_cmp_gt_u64_e32 vcc_lo, s[0:1], v[7:8]
	v_mov_b32_e32 v15, 0
                                        ; implicit-def: $vgpr13
                                        ; implicit-def: $vgpr29
                                        ; implicit-def: $vgpr35
                                        ; implicit-def: $vgpr27
                                        ; implicit-def: $vgpr39
                                        ; implicit-def: $vgpr33
                                        ; implicit-def: $vgpr37
                                        ; implicit-def: $vgpr31
	s_and_saveexec_b32 s1, vcc_lo
	s_cbranch_execz .LBB0_13
; %bb.10:
	v_cmp_gt_u32_e64 s0, 0x60, v0
	v_dual_mov_b32 v14, 0 :: v_dual_mov_b32 v15, 0
	v_dual_mov_b32 v24, 0 :: v_dual_mov_b32 v25, 0
	;; [unrolled: 1-line block ×8, first 2 shown]
                                        ; implicit-def: $vgpr30
                                        ; implicit-def: $vgpr36
                                        ; implicit-def: $vgpr32
                                        ; implicit-def: $vgpr38
                                        ; implicit-def: $vgpr26
                                        ; implicit-def: $vgpr34
                                        ; implicit-def: $vgpr28
                                        ; implicit-def: $vgpr12
	s_and_saveexec_b32 s14, s0
	s_cbranch_execz .LBB0_12
; %bb.11:
	s_add_nc_u64 s[10:11], s[12:13], s[10:11]
	s_load_b64 s[10:11], s[10:11], 0x0
	s_wait_kmcnt 0x0
	v_mul_lo_u32 v3, s11, v7
	v_mul_lo_u32 v4, s10, v8
	v_mad_co_u64_u32 v[1:2], null, s10, v7, 0
	s_delay_alu instid0(VALU_DEP_1) | instskip(SKIP_2) | instid1(VALU_DEP_3)
	v_add3_u32 v2, v2, v4, v3
	v_lshlrev_b64_e32 v[3:4], 3, v[9:10]
	v_lshlrev_b32_e32 v9, 3, v0
	v_lshlrev_b64_e32 v[1:2], 3, v[1:2]
	s_delay_alu instid0(VALU_DEP_1) | instskip(SKIP_1) | instid1(VALU_DEP_2)
	v_add_co_u32 v1, s0, s4, v1
	s_wait_alu 0xf1ff
	v_add_co_ci_u32_e64 v2, s0, s5, v2, s0
	s_delay_alu instid0(VALU_DEP_2) | instskip(SKIP_1) | instid1(VALU_DEP_2)
	v_add_co_u32 v1, s0, v1, v3
	s_wait_alu 0xf1ff
	v_add_co_ci_u32_e64 v2, s0, v2, v4, s0
	v_lshl_or_b32 v3, v0, 3, 0x1800
	s_delay_alu instid0(VALU_DEP_3) | instskip(SKIP_1) | instid1(VALU_DEP_3)
	v_add_co_u32 v9, s0, v1, v9
	s_wait_alu 0xf1ff
	v_add_co_ci_u32_e64 v10, s0, 0, v2, s0
	s_delay_alu instid0(VALU_DEP_3)
	v_add_co_u32 v11, s0, v1, v3
	s_wait_alu 0xf1ff
	v_add_co_ci_u32_e64 v12, s0, 0, v2, s0
	s_clause 0xf
	global_load_b64 v[1:2], v[9:10], off
	global_load_b64 v[18:19], v[9:10], off offset:768
	global_load_b64 v[22:23], v[9:10], off offset:1536
	;; [unrolled: 1-line block ×13, first 2 shown]
	global_load_b64 v[12:13], v[11:12], off
	global_load_b64 v[30:31], v[9:10], off offset:11520
.LBB0_12:
	s_or_b32 exec_lo, exec_lo, s14
	v_mov_b32_e32 v41, v0
.LBB0_13:
	s_wait_alu 0xfffe
	s_or_b32 exec_lo, exec_lo, s1
	s_wait_loadcnt 0x1
	v_dual_sub_f32 v9, v1, v12 :: v_dual_sub_f32 v38, v3, v38
	v_sub_f32_e32 v11, v23, v35
	v_sub_f32_e32 v35, v24, v36
	v_dual_sub_f32 v39, v4, v39 :: v_dual_sub_f32 v10, v22, v34
	s_delay_alu instid0(VALU_DEP_4)
	v_fma_f32 v12, v1, 2.0, -v9
	v_sub_f32_e32 v34, v25, v37
	v_fma_f32 v1, v23, 2.0, -v11
	v_fma_f32 v23, v24, 2.0, -v35
	v_dual_sub_f32 v24, v18, v28 :: v_dual_sub_f32 v27, v17, v27
	v_dual_sub_f32 v28, v19, v29 :: v_dual_sub_f32 v29, v20, v32
	v_sub_f32_e32 v32, v21, v33
	v_fma_f32 v3, v3, 2.0, -v38
	v_fma_f32 v22, v22, 2.0, -v10
	;; [unrolled: 1-line block ×4, first 2 shown]
	s_wait_loadcnt 0x0
	v_dual_sub_f32 v26, v16, v26 :: v_dual_sub_f32 v31, v15, v31
	v_fma_f32 v19, v19, 2.0, -v28
	v_fma_f32 v20, v20, 2.0, -v29
	;; [unrolled: 1-line block ×3, first 2 shown]
	v_dual_sub_f32 v30, v14, v30 :: v_dual_sub_f32 v33, v12, v3
	v_dual_sub_f32 v37, v9, v39 :: v_dual_sub_f32 v34, v10, v34
	v_fma_f32 v16, v16, 2.0, -v26
	s_delay_alu instid0(VALU_DEP_3)
	v_fma_f32 v36, v14, 2.0, -v30
	v_dual_sub_f32 v3, v22, v23 :: v_dual_sub_f32 v14, v1, v25
	v_add_f32_e32 v42, v11, v35
	v_sub_f32_e32 v20, v18, v20
	v_fma_f32 v44, v10, 2.0, -v34
	v_sub_f32_e32 v10, v19, v21
	v_add_f32_e32 v21, v28, v29
	v_fma_f32 v17, v17, 2.0, -v27
	v_fma_f32 v40, v15, 2.0, -v31
	;; [unrolled: 1-line block ×6, first 2 shown]
	v_sub_f32_e32 v11, v24, v32
	v_fma_f32 v25, v28, 2.0, -v21
	s_delay_alu instid0(VALU_DEP_4) | instskip(SKIP_1) | instid1(VALU_DEP_4)
	v_dual_sub_f32 v28, v26, v31 :: v_dual_sub_f32 v47, v12, v22
	v_fmamk_f32 v43, v44, 0xbf3504f3, v9
	v_fma_f32 v23, v24, 2.0, -v11
	v_sub_f32_e32 v24, v17, v40
	v_add_f32_e32 v32, v27, v30
	v_fma_f32 v26, v26, 2.0, -v28
	v_fmac_f32_e32 v43, 0xbf3504f3, v45
	v_fma_f32 v15, v19, 2.0, -v10
	v_sub_f32_e32 v19, v16, v36
	v_fma_f32 v17, v17, 2.0, -v24
	v_fma_f32 v22, v27, 2.0, -v32
	v_fmamk_f32 v36, v26, 0xbf3504f3, v23
	v_dual_fmamk_f32 v48, v34, 0x3f3504f3, v37 :: v_dual_sub_f32 v27, v33, v14
	s_delay_alu instid0(VALU_DEP_4) | instskip(NEXT) | instid1(VALU_DEP_3)
	v_sub_f32_e32 v31, v15, v17
	v_dual_add_f32 v51, v10, v19 :: v_dual_fmac_f32 v36, 0xbf3504f3, v22
	v_fma_f32 v29, v16, 2.0, -v19
	s_delay_alu instid0(VALU_DEP_4) | instskip(SKIP_1) | instid1(VALU_DEP_4)
	v_fma_f32 v50, v33, 2.0, -v27
	v_fmamk_f32 v35, v28, 0x3f3504f3, v11
	v_fma_f32 v53, v10, 2.0, -v51
	v_sub_f32_e32 v46, v20, v24
	v_fma_f32 v18, v18, 2.0, -v20
	v_fmac_f32_e32 v48, 0xbf3504f3, v42
	v_fmamk_f32 v30, v32, 0x3f3504f3, v21
	v_fmac_f32_e32 v35, 0xbf3504f3, v32
	v_fma_f32 v52, v20, 2.0, -v46
	v_fmamk_f32 v16, v22, 0xbf3504f3, v25
	v_fma_f32 v49, v9, 2.0, -v43
	v_sub_f32_e32 v29, v18, v29
	v_fma_f32 v54, v37, 2.0, -v48
	v_fmamk_f32 v17, v52, 0xbf3504f3, v50
	v_fmac_f32_e32 v16, 0x3f3504f3, v26
	v_fma_f32 v37, v23, 2.0, -v36
	v_fma_f32 v40, v11, 2.0, -v35
	;; [unrolled: 1-line block ×3, first 2 shown]
	v_fmac_f32_e32 v17, 0xbf3504f3, v53
	v_dual_fmac_f32 v30, 0x3f3504f3, v28 :: v_dual_fmamk_f32 v23, v46, 0x3f3504f3, v27
	v_fma_f32 v9, v18, 2.0, -v29
	v_fma_f32 v33, v25, 2.0, -v16
	v_fmamk_f32 v10, v37, 0xbf6c835e, v49
	s_delay_alu instid0(VALU_DEP_4)
	v_fma_f32 v32, v21, 2.0, -v30
	v_fmamk_f32 v18, v40, 0xbec3ef15, v54
	v_sub_f32_e32 v9, v12, v9
	v_fmamk_f32 v22, v36, 0x3ec3ef15, v43
	v_fmamk_f32 v24, v35, 0x3f6c835e, v48
	v_fmac_f32_e32 v10, 0xbec3ef15, v33
	v_dual_fmac_f32 v18, 0xbf6c835e, v32 :: v_dual_sub_f32 v21, v47, v31
	s_delay_alu instid0(VALU_DEP_4)
	v_fmac_f32_e32 v22, 0xbf6c835e, v16
	v_fmac_f32_e32 v23, 0xbf3504f3, v51
	v_fmac_f32_e32 v24, 0xbec3ef15, v30
	v_fma_f32 v11, v12, 2.0, -v9
	v_fma_f32 v12, v49, 2.0, -v10
	;; [unrolled: 1-line block ×8, first 2 shown]
	v_cmp_gt_u32_e64 s0, 0x60, v0
	v_lshl_add_u32 v43, v0, 6, 0
	s_delay_alu instid0(VALU_DEP_2)
	s_and_saveexec_b32 s1, s0
	s_cbranch_execz .LBB0_15
; %bb.14:
	ds_store_2addr_b64 v43, v[11:12], v[19:20] offset1:1
	ds_store_2addr_b64 v43, v[25:26], v[27:28] offset0:2 offset1:3
	ds_store_2addr_b64 v43, v[9:10], v[17:18] offset0:4 offset1:5
	;; [unrolled: 1-line block ×3, first 2 shown]
.LBB0_15:
	s_wait_alu 0xfffe
	s_or_b32 exec_lo, exec_lo, s1
	v_dual_mul_f32 v47, 0x3f3504f3, v44 :: v_dual_mul_f32 v48, 0x3f3504f3, v34
	v_dual_mul_f32 v49, 0x3f3504f3, v45 :: v_dual_mul_f32 v50, 0x3f3504f3, v42
	;; [unrolled: 1-line block ×3, first 2 shown]
	v_mul_f32_e32 v34, 0x3f3504f3, v53
	v_mul_f32_e32 v46, 0x3f3504f3, v51
	v_lshl_add_u32 v42, v0, 2, 0
	global_wb scope:SCOPE_SE
	s_wait_dscnt 0x0
	s_barrier_signal -1
	s_barrier_wait -1
	global_inv scope:SCOPE_SE
	s_and_saveexec_b32 s1, s0
	s_cbranch_execz .LBB0_17
; %bb.16:
	v_add_nc_u32_e32 v9, 0x200, v42
	v_add_nc_u32_e32 v10, 0x400, v42
	;; [unrolled: 1-line block ×3, first 2 shown]
	ds_load_2addr_b32 v[11:12], v42 offset1:96
	v_add_nc_u32_e32 v18, 0xe00, v42
	ds_load_2addr_b32 v[19:20], v9 offset0:64 offset1:160
	ds_load_2addr_b32 v[25:26], v10 offset0:128 offset1:224
	v_add_nc_u32_e32 v9, 0xc00, v42
	v_add_nc_u32_e32 v21, 0x1000, v42
	;; [unrolled: 1-line block ×3, first 2 shown]
	ds_load_2addr_b32 v[27:28], v17 offset0:64 offset1:160
	ds_load_2addr_b32 v[9:10], v9 offset1:96
	ds_load_2addr_b32 v[17:18], v18 offset0:64 offset1:160
	ds_load_2addr_b32 v[21:22], v21 offset0:128 offset1:224
	;; [unrolled: 1-line block ×3, first 2 shown]
.LBB0_17:
	s_wait_alu 0xfffe
	s_or_b32 exec_lo, exec_lo, s1
	v_sub_f32_e32 v13, v2, v13
	v_fma_f32 v4, v4, 2.0, -v39
	v_fma_f32 v1, v1, 2.0, -v14
	v_fma_f32 v15, v15, 2.0, -v31
	global_wb scope:SCOPE_SE
	s_wait_dscnt 0x0
	v_add_f32_e32 v38, v13, v38
	s_barrier_signal -1
	s_barrier_wait -1
	global_inv scope:SCOPE_SE
	v_add_f32_e32 v39, v38, v50
	s_delay_alu instid0(VALU_DEP_1) | instskip(SKIP_1) | instid1(VALU_DEP_1)
	v_add_f32_e32 v48, v48, v39
	v_fma_f32 v2, v2, 2.0, -v13
	v_sub_f32_e32 v4, v2, v4
	s_delay_alu instid0(VALU_DEP_1) | instskip(SKIP_2) | instid1(VALU_DEP_3)
	v_add_f32_e32 v3, v4, v3
	v_fma_f32 v13, v13, 2.0, -v38
	v_fma_f32 v38, v38, 2.0, -v48
	v_add_f32_e32 v39, v3, v46
	v_fma_f32 v2, v2, 2.0, -v4
	s_delay_alu instid0(VALU_DEP_4) | instskip(SKIP_2) | instid1(VALU_DEP_3)
	v_sub_f32_e32 v14, v13, v49
	v_fma_f32 v4, v4, 2.0, -v3
	v_fmamk_f32 v30, v30, 0x3f6c835e, v48
	v_dual_sub_f32 v1, v2, v1 :: v_dual_add_f32 v14, v47, v14
	s_delay_alu instid0(VALU_DEP_1) | instskip(NEXT) | instid1(VALU_DEP_2)
	v_fma_f32 v2, v2, 2.0, -v1
	v_fma_f32 v46, v13, 2.0, -v14
	v_sub_f32_e32 v13, v4, v34
	v_dual_fmamk_f32 v34, v32, 0xbec3ef15, v38 :: v_dual_add_f32 v31, v1, v29
	v_dual_fmamk_f32 v32, v16, 0x3ec3ef15, v14 :: v_dual_add_f32 v29, v45, v39
	s_delay_alu instid0(VALU_DEP_4) | instskip(NEXT) | instid1(VALU_DEP_4)
	v_dual_sub_f32 v15, v2, v15 :: v_dual_fmamk_f32 v16, v33, 0xbf6c835e, v46
	v_dual_fmac_f32 v30, 0x3ec3ef15, v35 :: v_dual_add_f32 v33, v44, v13
	s_delay_alu instid0(VALU_DEP_4) | instskip(NEXT) | instid1(VALU_DEP_4)
	v_fmac_f32_e32 v34, 0x3f6c835e, v40
	v_fmac_f32_e32 v32, 0x3f6c835e, v36
	s_delay_alu instid0(VALU_DEP_4)
	v_fmac_f32_e32 v16, 0x3ec3ef15, v37
	v_fma_f32 v35, v1, 2.0, -v31
	v_fma_f32 v39, v3, 2.0, -v29
	;; [unrolled: 1-line block ×8, first 2 shown]
	s_and_saveexec_b32 s1, s0
	s_cbranch_execz .LBB0_19
; %bb.18:
	ds_store_2addr_b64 v43, v[13:14], v[37:38] offset1:1
	ds_store_2addr_b64 v43, v[35:36], v[39:40] offset0:2 offset1:3
	ds_store_2addr_b64 v43, v[15:16], v[33:34] offset0:4 offset1:5
	;; [unrolled: 1-line block ×3, first 2 shown]
.LBB0_19:
	s_wait_alu 0xfffe
	s_or_b32 exec_lo, exec_lo, s1
	global_wb scope:SCOPE_SE
	s_wait_dscnt 0x0
	s_barrier_signal -1
	s_barrier_wait -1
	global_inv scope:SCOPE_SE
	s_and_saveexec_b32 s1, s0
	s_cbranch_execz .LBB0_21
; %bb.20:
	v_add_nc_u32_e32 v1, 0x200, v42
	v_add_nc_u32_e32 v2, 0x400, v42
	;; [unrolled: 1-line block ×3, first 2 shown]
	ds_load_2addr_b32 v[13:14], v42 offset1:96
	v_add_nc_u32_e32 v4, 0x1000, v42
	ds_load_2addr_b32 v[37:38], v1 offset0:64 offset1:160
	ds_load_2addr_b32 v[35:36], v2 offset0:128 offset1:224
	v_add_nc_u32_e32 v1, 0xc00, v42
	v_add_nc_u32_e32 v2, 0xe00, v42
	;; [unrolled: 1-line block ×3, first 2 shown]
	ds_load_2addr_b32 v[39:40], v3 offset0:64 offset1:160
	ds_load_2addr_b32 v[15:16], v1 offset1:96
	ds_load_2addr_b32 v[33:34], v2 offset0:64 offset1:160
	ds_load_2addr_b32 v[31:32], v4 offset0:128 offset1:224
	;; [unrolled: 1-line block ×3, first 2 shown]
.LBB0_21:
	s_wait_alu 0xfffe
	s_or_b32 exec_lo, exec_lo, s1
	v_and_b32_e32 v43, 15, v0
	s_delay_alu instid0(VALU_DEP_1) | instskip(NEXT) | instid1(VALU_DEP_1)
	v_mul_u32_u24_e32 v1, 15, v43
	v_lshlrev_b32_e32 v44, 3, v1
	s_clause 0x7
	global_load_b128 v[45:48], v44, s[8:9]
	global_load_b128 v[49:52], v44, s[8:9] offset:16
	global_load_b128 v[53:56], v44, s[8:9] offset:32
	;; [unrolled: 1-line block ×6, first 2 shown]
	global_load_b64 v[69:70], v44, s[8:9] offset:112
	global_wb scope:SCOPE_SE
	s_wait_loadcnt_dscnt 0x0
	s_barrier_signal -1
	s_barrier_wait -1
	global_inv scope:SCOPE_SE
	v_dual_mul_f32 v71, v14, v46 :: v_dual_mul_f32 v72, v37, v48
	v_dual_mul_f32 v73, v38, v50 :: v_dual_mul_f32 v48, v19, v48
	v_mul_f32_e32 v77, v28, v2
	v_dual_mul_f32 v50, v20, v50 :: v_dual_mul_f32 v75, v39, v56
	v_mul_f32_e32 v82, v32, v66
	v_mul_f32_e32 v66, v22, v66
	s_delay_alu instid0(VALU_DEP_4)
	v_dual_mul_f32 v74, v35, v52 :: v_dual_fmac_f32 v77, v40, v1
	v_dual_mul_f32 v76, v40, v2 :: v_dual_mul_f32 v83, v29, v68
	v_dual_mul_f32 v81, v31, v64 :: v_dual_mul_f32 v84, v30, v70
	v_mul_f32_e32 v70, v24, v70
	v_fmac_f32_e32 v66, v32, v65
	v_mul_f32_e32 v44, v25, v52
	v_dual_mul_f32 v52, v36, v54 :: v_dual_mul_f32 v79, v33, v60
	v_mul_f32_e32 v54, v26, v54
	v_mul_f32_e32 v46, v12, v46
	;; [unrolled: 1-line block ×3, first 2 shown]
	v_fma_f32 v71, v12, v45, -v71
	v_fma_f32 v2, v25, v51, -v74
	;; [unrolled: 1-line block ×3, first 2 shown]
	v_mul_f32_e32 v56, v27, v56
	v_fma_f32 v26, v27, v55, -v75
	v_fma_f32 v27, v28, v1, -v76
	;; [unrolled: 1-line block ×4, first 2 shown]
	v_mul_f32_e32 v78, v16, v58
	v_fmac_f32_e32 v70, v30, v69
	v_mul_f32_e32 v68, v23, v68
	v_fma_f32 v19, v19, v47, -v72
	v_fmac_f32_e32 v64, v31, v63
	v_sub_f32_e32 v21, v27, v21
	v_sub_f32_e32 v31, v77, v70
	v_fma_f32 v1, v10, v57, -v78
	v_fmac_f32_e32 v68, v29, v67
	v_mul_f32_e32 v58, v10, v58
	v_fma_f32 v10, v17, v59, -v79
	v_fmac_f32_e32 v54, v36, v53
	v_fmac_f32_e32 v46, v14, v45
	v_sub_f32_e32 v24, v71, v1
	v_fmac_f32_e32 v58, v16, v57
	v_sub_f32_e32 v10, v19, v10
	v_mul_f32_e32 v60, v17, v60
	v_fma_f32 v17, v22, v65, -v82
	v_sub_f32_e32 v29, v54, v66
	v_mul_f32_e32 v80, v34, v62
	v_sub_f32_e32 v28, v46, v58
	v_fmac_f32_e32 v48, v37, v47
	v_dual_sub_f32 v17, v25, v17 :: v_dual_fmac_f32 v56, v39, v55
	v_dual_mul_f32 v62, v18, v62 :: v_dual_sub_f32 v45, v24, v29
	v_fma_f32 v16, v18, v61, -v80
	v_fma_f32 v18, v23, v67, -v83
	s_delay_alu instid0(VALU_DEP_4) | instskip(SKIP_2) | instid1(VALU_DEP_4)
	v_dual_sub_f32 v23, v56, v68 :: v_dual_fmac_f32 v50, v38, v49
	v_fma_f32 v20, v20, v49, -v73
	v_fma_f32 v1, v19, 2.0, -v10
	v_sub_f32_e32 v18, v26, v18
	s_delay_alu instid0(VALU_DEP_4)
	v_fma_f32 v32, v56, 2.0, -v23
	v_sub_f32_e32 v23, v10, v23
	v_fmac_f32_e32 v60, v33, v59
	v_fma_f32 v25, v25, 2.0, -v17
	v_add_f32_e32 v17, v28, v17
	v_fmac_f32_e32 v62, v34, v61
	v_fmac_f32_e32 v44, v35, v51
	v_sub_f32_e32 v22, v48, v60
	v_sub_f32_e32 v16, v20, v16
	v_fma_f32 v35, v54, 2.0, -v29
	v_fma_f32 v26, v26, 2.0, -v18
	v_fma_f32 v33, v71, 2.0, -v24
	v_add_f32_e32 v38, v22, v18
	v_fma_f32 v19, v48, 2.0, -v22
	v_fma_f32 v36, v46, 2.0, -v28
	;; [unrolled: 1-line block ×6, first 2 shown]
	v_dual_sub_f32 v31, v16, v31 :: v_dual_sub_f32 v18, v1, v26
	s_delay_alu instid0(VALU_DEP_3)
	v_dual_sub_f32 v34, v19, v32 :: v_dual_mul_f32 v29, 0x3f3504f3, v22
	v_sub_f32_e32 v30, v50, v62
	v_fma_f32 v26, v10, 2.0, -v23
	v_sub_f32_e32 v32, v33, v25
	v_sub_f32_e32 v46, v36, v35
	v_fma_f32 v47, v24, 2.0, -v45
	v_fma_f32 v39, v50, 2.0, -v30
	v_add_f32_e32 v40, v30, v21
	v_fma_f32 v48, v28, 2.0, -v17
	v_sub_f32_e32 v28, v37, v20
	v_fma_f32 v16, v16, 2.0, -v31
	v_sub_f32_e32 v27, v39, v27
	v_fma_f32 v30, v30, 2.0, -v40
	v_dual_mul_f32 v20, 0x3f3504f3, v23 :: v_dual_mul_f32 v35, 0x3f3504f3, v38
	v_fmamk_f32 v21, v31, 0x3f3504f3, v45
	v_fmamk_f32 v23, v40, 0x3f3504f3, v17
	v_fma_f32 v10, v33, 2.0, -v32
	v_fma_f32 v38, v36, 2.0, -v46
	;; [unrolled: 1-line block ×3, first 2 shown]
	v_fmac_f32_e32 v21, 0xbf3504f3, v40
	v_fma_f32 v36, v39, 2.0, -v27
	v_mul_f32_e32 v25, 0x3f3504f3, v26
	v_fmamk_f32 v22, v16, 0xbf3504f3, v47
	v_fmamk_f32 v24, v30, 0xbf3504f3, v48
	v_dual_sub_f32 v26, v32, v27 :: v_dual_add_f32 v37, v46, v28
	v_dual_fmac_f32 v23, 0x3f3504f3, v31 :: v_dual_sub_f32 v40, v38, v36
	s_delay_alu instid0(VALU_DEP_4) | instskip(NEXT) | instid1(VALU_DEP_4)
	v_fmac_f32_e32 v22, 0xbf3504f3, v30
	v_fmac_f32_e32 v24, 0x3f3504f3, v16
	s_delay_alu instid0(VALU_DEP_4)
	v_fma_f32 v16, v32, 2.0, -v26
	v_fma_f32 v36, v46, 2.0, -v37
	v_sub_f32_e32 v12, v2, v12
	v_sub_f32_e32 v14, v44, v64
	;; [unrolled: 1-line block ×3, first 2 shown]
	v_fma_f32 v27, v45, 2.0, -v21
	v_fma_f32 v31, v17, 2.0, -v23
	v_mul_f32_e32 v33, 0x3f3504f3, v26
	v_mul_f32_e32 v37, 0x3f3504f3, v37
	v_fma_f32 v26, v47, 2.0, -v22
	v_fma_f32 v30, v48, 2.0, -v24
	v_mul_f32_e32 v32, 0x3f3504f3, v16
	v_mul_f32_e32 v36, 0x3f3504f3, v36
	v_lshlrev_b32_e32 v39, 4, v0
	s_and_saveexec_b32 s1, s0
	s_cbranch_execz .LBB0_23
; %bb.22:
	v_mul_f32_e32 v16, v15, v4
	v_fma_f32 v2, v2, 2.0, -v12
	v_fma_f32 v1, v1, 2.0, -v18
	;; [unrolled: 1-line block ×3, first 2 shown]
	v_and_or_b32 v46, 0x700, v39, v43
	v_fma_f32 v16, v9, v3, -v16
	s_delay_alu instid0(VALU_DEP_2) | instskip(NEXT) | instid1(VALU_DEP_2)
	v_lshl_add_u32 v46, v46, 2, 0
	v_sub_f32_e32 v16, v11, v16
	s_delay_alu instid0(VALU_DEP_1) | instskip(NEXT) | instid1(VALU_DEP_1)
	v_fma_f32 v11, v11, 2.0, -v16
	v_sub_f32_e32 v2, v11, v2
	s_delay_alu instid0(VALU_DEP_1) | instskip(NEXT) | instid1(VALU_DEP_1)
	v_sub_f32_e32 v47, v2, v34
	v_dual_sub_f32 v17, v16, v14 :: v_dual_add_f32 v50, v47, v33
	s_delay_alu instid0(VALU_DEP_1) | instskip(NEXT) | instid1(VALU_DEP_1)
	v_fma_f32 v16, v16, 2.0, -v17
	v_dual_add_f32 v45, v17, v20 :: v_dual_sub_f32 v48, v16, v25
	s_delay_alu instid0(VALU_DEP_1) | instskip(NEXT) | instid1(VALU_DEP_1)
	v_sub_f32_e32 v45, v45, v35
	v_fmamk_f32 v49, v21, 0x3f6c835e, v45
	v_fma_f32 v11, v11, 2.0, -v2
	s_delay_alu instid0(VALU_DEP_4)
	v_sub_f32_e32 v48, v48, v29
	v_fma_f32 v17, v17, 2.0, -v45
	v_fma_f32 v2, v2, 2.0, -v47
	v_fmac_f32_e32 v49, 0xbec3ef15, v23
	v_sub_f32_e32 v1, v11, v1
	v_fma_f32 v16, v16, 2.0, -v48
	v_dual_sub_f32 v50, v50, v37 :: v_dual_fmamk_f32 v53, v27, 0xbec3ef15, v17
	v_sub_f32_e32 v54, v2, v32
	s_delay_alu instid0(VALU_DEP_4) | instskip(SKIP_2) | instid1(VALU_DEP_4)
	v_dual_fmamk_f32 v51, v22, 0x3ec3ef15, v48 :: v_dual_sub_f32 v52, v1, v40
	v_fma_f32 v11, v11, 2.0, -v1
	v_fmamk_f32 v55, v26, 0xbf6c835e, v16
	v_dual_fmac_f32 v53, 0xbf6c835e, v31 :: v_dual_sub_f32 v54, v54, v36
	s_delay_alu instid0(VALU_DEP_3) | instskip(NEXT) | instid1(VALU_DEP_3)
	v_dual_fmac_f32 v51, 0xbf6c835e, v24 :: v_dual_sub_f32 v10, v11, v10
	v_fmac_f32_e32 v55, 0xbec3ef15, v30
	v_fma_f32 v45, v45, 2.0, -v49
	v_fma_f32 v47, v47, 2.0, -v50
	;; [unrolled: 1-line block ×8, first 2 shown]
	ds_store_2addr_b32 v46, v47, v45 offset0:96 offset1:112
	ds_store_2addr_b32 v46, v54, v53 offset0:160 offset1:176
	;; [unrolled: 1-line block ×6, first 2 shown]
	ds_store_2addr_b32 v46, v11, v16 offset1:16
	ds_store_2addr_b32 v46, v50, v49 offset0:224 offset1:240
.LBB0_23:
	s_wait_alu 0xfffe
	s_or_b32 exec_lo, exec_lo, s1
	global_wb scope:SCOPE_SE
	s_wait_dscnt 0x0
	s_barrier_signal -1
	s_barrier_wait -1
	global_inv scope:SCOPE_SE
	ds_load_2addr_stride64_b32 v[1:2], v42 offset1:4
	ds_load_2addr_stride64_b32 v[10:11], v42 offset0:8 offset1:12
	ds_load_2addr_stride64_b32 v[16:17], v42 offset0:16 offset1:20
	global_wb scope:SCOPE_SE
	s_wait_dscnt 0x0
	s_barrier_signal -1
	s_barrier_wait -1
	global_inv scope:SCOPE_SE
	s_and_saveexec_b32 s1, s0
	s_cbranch_execz .LBB0_25
; %bb.24:
	v_mul_f32_e32 v4, v9, v4
	s_delay_alu instid0(VALU_DEP_1) | instskip(NEXT) | instid1(VALU_DEP_1)
	v_fmac_f32_e32 v4, v15, v3
	v_sub_f32_e32 v3, v13, v4
	v_fma_f32 v4, v44, 2.0, -v14
	v_fma_f32 v14, v38, 2.0, -v40
	s_delay_alu instid0(VALU_DEP_3) | instskip(SKIP_2) | instid1(VALU_DEP_3)
	v_fma_f32 v9, v13, 2.0, -v3
	v_fma_f32 v13, v19, 2.0, -v34
	v_and_or_b32 v19, 0x700, v39, v43
	v_sub_f32_e32 v4, v9, v4
	s_delay_alu instid0(VALU_DEP_2) | instskip(NEXT) | instid1(VALU_DEP_2)
	v_lshl_add_u32 v19, v19, 2, 0
	v_add_f32_e32 v18, v4, v18
	v_add_f32_e32 v12, v3, v12
	s_delay_alu instid0(VALU_DEP_1) | instskip(NEXT) | instid1(VALU_DEP_1)
	v_add_f32_e32 v15, v12, v35
	v_add_f32_e32 v15, v20, v15
	v_fma_f32 v3, v3, 2.0, -v12
	s_delay_alu instid0(VALU_DEP_2) | instskip(NEXT) | instid1(VALU_DEP_2)
	v_fma_f32 v12, v12, 2.0, -v15
	v_sub_f32_e32 v29, v3, v29
	v_fma_f32 v9, v9, 2.0, -v4
	v_fma_f32 v4, v4, 2.0, -v18
	v_fmamk_f32 v23, v23, 0x3f6c835e, v15
	s_delay_alu instid0(VALU_DEP_4) | instskip(NEXT) | instid1(VALU_DEP_4)
	v_dual_fmamk_f32 v31, v31, 0xbec3ef15, v12 :: v_dual_add_f32 v20, v25, v29
	v_sub_f32_e32 v13, v9, v13
	v_add_f32_e32 v25, v18, v37
	s_delay_alu instid0(VALU_DEP_4) | instskip(NEXT) | instid1(VALU_DEP_4)
	v_fmac_f32_e32 v23, 0x3ec3ef15, v21
	v_fmac_f32_e32 v31, 0x3f6c835e, v27
	v_fma_f32 v3, v3, 2.0, -v20
	v_add_f32_e32 v28, v13, v28
	v_fma_f32 v9, v9, 2.0, -v13
	v_sub_f32_e32 v29, v4, v36
	v_dual_fmamk_f32 v24, v24, 0x3ec3ef15, v20 :: v_dual_add_f32 v25, v33, v25
	s_delay_alu instid0(VALU_DEP_3) | instskip(NEXT) | instid1(VALU_DEP_2)
	v_dual_fmamk_f32 v21, v30, 0xbf6c835e, v3 :: v_dual_sub_f32 v14, v9, v14
	v_dual_add_f32 v29, v32, v29 :: v_dual_fmac_f32 v24, 0x3f6c835e, v22
	s_delay_alu instid0(VALU_DEP_3) | instskip(NEXT) | instid1(VALU_DEP_3)
	v_fma_f32 v18, v18, 2.0, -v25
	v_fmac_f32_e32 v21, 0x3ec3ef15, v26
	v_fma_f32 v15, v15, 2.0, -v23
	s_delay_alu instid0(VALU_DEP_4)
	v_fma_f32 v4, v4, 2.0, -v29
	v_fma_f32 v12, v12, 2.0, -v31
	;; [unrolled: 1-line block ×6, first 2 shown]
	ds_store_2addr_b32 v19, v18, v15 offset0:96 offset1:112
	ds_store_2addr_b32 v19, v29, v31 offset0:160 offset1:176
	;; [unrolled: 1-line block ×6, first 2 shown]
	ds_store_2addr_b32 v19, v9, v3 offset1:16
	ds_store_2addr_b32 v19, v25, v23 offset0:224 offset1:240
.LBB0_25:
	s_wait_alu 0xfffe
	s_or_b32 exec_lo, exec_lo, s1
	global_wb scope:SCOPE_SE
	s_wait_dscnt 0x0
	s_barrier_signal -1
	s_barrier_wait -1
	global_inv scope:SCOPE_SE
	s_and_saveexec_b32 s0, vcc_lo
	s_cbranch_execz .LBB0_27
; %bb.26:
	v_mul_u32_u24_e32 v0, 5, v0
	v_mul_lo_u32 v9, s2, v8
	v_lshlrev_b64_e32 v[5:6], 3, v[5:6]
	s_delay_alu instid0(VALU_DEP_3)
	v_lshlrev_b32_e32 v0, 3, v0
	s_clause 0x2
	global_load_b128 v[12:15], v0, s[8:9] offset:1920
	global_load_b128 v[18:21], v0, s[8:9] offset:1936
	global_load_b64 v[3:4], v0, s[8:9] offset:1952
	v_mul_lo_u32 v0, s3, v7
	v_mad_co_u64_u32 v[7:8], null, s2, v7, 0
	ds_load_2addr_stride64_b32 v[22:23], v42 offset0:8 offset1:12
	ds_load_2addr_stride64_b32 v[24:25], v42 offset0:16 offset1:20
	ds_load_2addr_stride64_b32 v[26:27], v42 offset1:4
	v_add3_u32 v8, v8, v9, v0
	s_delay_alu instid0(VALU_DEP_1) | instskip(NEXT) | instid1(VALU_DEP_1)
	v_lshlrev_b64_e32 v[7:8], 3, v[7:8]
	v_add_co_u32 v0, vcc_lo, s6, v7
	s_wait_alu 0xfffd
	s_delay_alu instid0(VALU_DEP_2) | instskip(SKIP_1) | instid1(VALU_DEP_3)
	v_add_co_ci_u32_e32 v7, vcc_lo, s7, v8, vcc_lo
	v_lshlrev_b32_e32 v8, 3, v41
	v_add_co_u32 v0, vcc_lo, v0, v5
	s_wait_alu 0xfffd
	s_delay_alu instid0(VALU_DEP_3)
	v_add_co_ci_u32_e32 v6, vcc_lo, v7, v6, vcc_lo
	s_wait_loadcnt_dscnt 0x101
	v_mul_f32_e32 v7, v24, v21
	s_wait_loadcnt 0x0
	v_dual_mul_f32 v9, v16, v21 :: v_dual_mul_f32 v28, v25, v4
	v_mul_f32_e32 v21, v23, v19
	v_add_co_u32 v5, vcc_lo, v0, v8
	v_mul_f32_e32 v0, v22, v15
	s_delay_alu instid0(VALU_DEP_4)
	v_dual_mul_f32 v8, v10, v15 :: v_dual_fmac_f32 v9, v20, v24
	v_dual_mul_f32 v19, v11, v19 :: v_dual_mul_f32 v4, v17, v4
	s_wait_dscnt 0x0
	v_mul_f32_e32 v15, v27, v13
	v_fma_f32 v0, v10, v14, -v0
	v_fmac_f32_e32 v8, v14, v22
	v_mul_f32_e32 v13, v2, v13
	v_fma_f32 v10, v11, v18, -v21
	v_fma_f32 v11, v17, v3, -v28
	v_dual_fmac_f32 v19, v18, v23 :: v_dual_fmac_f32 v4, v3, v25
	v_fma_f32 v7, v16, v20, -v7
	v_fma_f32 v2, v2, v12, -v15
	s_delay_alu instid0(VALU_DEP_4) | instskip(NEXT) | instid1(VALU_DEP_4)
	v_add_f32_e32 v14, v10, v11
	v_dual_add_f32 v18, v8, v26 :: v_dual_add_f32 v17, v19, v4
	v_fmac_f32_e32 v13, v12, v27
	v_dual_add_f32 v12, v8, v9 :: v_dual_sub_f32 v15, v19, v4
	v_sub_f32_e32 v3, v0, v7
	v_sub_f32_e32 v16, v10, v11
	s_delay_alu instid0(VALU_DEP_4) | instskip(NEXT) | instid1(VALU_DEP_4)
	v_dual_add_f32 v19, v13, v19 :: v_dual_sub_f32 v8, v8, v9
	v_fma_f32 v21, -0.5, v12, v26
	v_add_f32_e32 v20, v0, v7
	v_add_f32_e32 v0, v1, v0
	v_add_f32_e32 v10, v2, v10
	v_fma_f32 v12, -0.5, v14, v2
	v_fma_f32 v2, -0.5, v17, v13
	v_add_f32_e32 v9, v9, v18
	v_dual_add_f32 v7, v0, v7 :: v_dual_add_f32 v4, v19, v4
	s_delay_alu instid0(VALU_DEP_4)
	v_dual_add_f32 v10, v10, v11 :: v_dual_fmamk_f32 v13, v15, 0xbf5db3d7, v12
	v_fmamk_f32 v11, v3, 0x3f5db3d7, v21
	v_fma_f32 v17, -0.5, v20, v1
	v_fmac_f32_e32 v21, 0xbf5db3d7, v3
	v_dual_fmamk_f32 v14, v16, 0x3f5db3d7, v2 :: v_dual_sub_f32 v1, v9, v4
	v_fmac_f32_e32 v2, 0xbf5db3d7, v16
	v_fmac_f32_e32 v12, 0x3f5db3d7, v15
	v_fmamk_f32 v15, v8, 0xbf5db3d7, v17
	v_dual_fmac_f32 v17, 0x3f5db3d7, v8 :: v_dual_sub_f32 v0, v7, v10
	v_dual_add_f32 v3, v9, v4 :: v_dual_mul_f32 v4, -0.5, v13
	v_mul_f32_e32 v9, 0x3f5db3d7, v2
	v_mul_f32_e32 v16, -0.5, v14
	s_wait_alu 0xfffd
	v_add_co_ci_u32_e32 v6, vcc_lo, 0, v6, vcc_lo
	s_delay_alu instid0(VALU_DEP_3) | instskip(SKIP_2) | instid1(VALU_DEP_2)
	v_dual_fmac_f32 v4, 0x3f5db3d7, v14 :: v_dual_fmac_f32 v9, 0.5, v12
	v_mul_f32_e32 v18, 0xbf5db3d7, v12
	v_fmac_f32_e32 v16, 0xbf5db3d7, v13
	v_dual_add_f32 v13, v17, v9 :: v_dual_fmac_f32 v18, 0.5, v2
	v_dual_add_f32 v2, v7, v10 :: v_dual_sub_f32 v9, v17, v9
	v_sub_f32_e32 v7, v15, v4
	s_delay_alu instid0(VALU_DEP_4) | instskip(NEXT) | instid1(VALU_DEP_4)
	v_sub_f32_e32 v8, v11, v16
	v_add_f32_e32 v14, v21, v18
	v_add_f32_e32 v12, v11, v16
	v_dual_add_f32 v11, v15, v4 :: v_dual_sub_f32 v10, v21, v18
	s_clause 0x5
	global_store_b64 v[5:6], v[2:3], off
	global_store_b64 v[5:6], v[13:14], off offset:2048
	global_store_b64 v[5:6], v[11:12], off offset:4096
	;; [unrolled: 1-line block ×5, first 2 shown]
.LBB0_27:
	s_nop 0
	s_sendmsg sendmsg(MSG_DEALLOC_VGPRS)
	s_endpgm
	.section	.rodata,"a",@progbits
	.p2align	6, 0x0
	.amdhsa_kernel fft_rtc_fwd_len1536_factors_16_16_6_wgs_256_tpt_256_halfLds_sp_op_CI_CI_unitstride_sbrr_dirReg
		.amdhsa_group_segment_fixed_size 0
		.amdhsa_private_segment_fixed_size 0
		.amdhsa_kernarg_size 104
		.amdhsa_user_sgpr_count 2
		.amdhsa_user_sgpr_dispatch_ptr 0
		.amdhsa_user_sgpr_queue_ptr 0
		.amdhsa_user_sgpr_kernarg_segment_ptr 1
		.amdhsa_user_sgpr_dispatch_id 0
		.amdhsa_user_sgpr_private_segment_size 0
		.amdhsa_wavefront_size32 1
		.amdhsa_uses_dynamic_stack 0
		.amdhsa_enable_private_segment 0
		.amdhsa_system_sgpr_workgroup_id_x 1
		.amdhsa_system_sgpr_workgroup_id_y 0
		.amdhsa_system_sgpr_workgroup_id_z 0
		.amdhsa_system_sgpr_workgroup_info 0
		.amdhsa_system_vgpr_workitem_id 0
		.amdhsa_next_free_vgpr 85
		.amdhsa_next_free_sgpr 39
		.amdhsa_reserve_vcc 1
		.amdhsa_float_round_mode_32 0
		.amdhsa_float_round_mode_16_64 0
		.amdhsa_float_denorm_mode_32 3
		.amdhsa_float_denorm_mode_16_64 3
		.amdhsa_fp16_overflow 0
		.amdhsa_workgroup_processor_mode 1
		.amdhsa_memory_ordered 1
		.amdhsa_forward_progress 0
		.amdhsa_round_robin_scheduling 0
		.amdhsa_exception_fp_ieee_invalid_op 0
		.amdhsa_exception_fp_denorm_src 0
		.amdhsa_exception_fp_ieee_div_zero 0
		.amdhsa_exception_fp_ieee_overflow 0
		.amdhsa_exception_fp_ieee_underflow 0
		.amdhsa_exception_fp_ieee_inexact 0
		.amdhsa_exception_int_div_zero 0
	.end_amdhsa_kernel
	.text
.Lfunc_end0:
	.size	fft_rtc_fwd_len1536_factors_16_16_6_wgs_256_tpt_256_halfLds_sp_op_CI_CI_unitstride_sbrr_dirReg, .Lfunc_end0-fft_rtc_fwd_len1536_factors_16_16_6_wgs_256_tpt_256_halfLds_sp_op_CI_CI_unitstride_sbrr_dirReg
                                        ; -- End function
	.section	.AMDGPU.csdata,"",@progbits
; Kernel info:
; codeLenInByte = 5948
; NumSgprs: 41
; NumVgprs: 85
; ScratchSize: 0
; MemoryBound: 0
; FloatMode: 240
; IeeeMode: 1
; LDSByteSize: 0 bytes/workgroup (compile time only)
; SGPRBlocks: 5
; VGPRBlocks: 10
; NumSGPRsForWavesPerEU: 41
; NumVGPRsForWavesPerEU: 85
; Occupancy: 16
; WaveLimiterHint : 1
; COMPUTE_PGM_RSRC2:SCRATCH_EN: 0
; COMPUTE_PGM_RSRC2:USER_SGPR: 2
; COMPUTE_PGM_RSRC2:TRAP_HANDLER: 0
; COMPUTE_PGM_RSRC2:TGID_X_EN: 1
; COMPUTE_PGM_RSRC2:TGID_Y_EN: 0
; COMPUTE_PGM_RSRC2:TGID_Z_EN: 0
; COMPUTE_PGM_RSRC2:TIDIG_COMP_CNT: 0
	.text
	.p2alignl 7, 3214868480
	.fill 96, 4, 3214868480
	.type	__hip_cuid_eeda9edbccdda06b,@object ; @__hip_cuid_eeda9edbccdda06b
	.section	.bss,"aw",@nobits
	.globl	__hip_cuid_eeda9edbccdda06b
__hip_cuid_eeda9edbccdda06b:
	.byte	0                               ; 0x0
	.size	__hip_cuid_eeda9edbccdda06b, 1

	.ident	"AMD clang version 19.0.0git (https://github.com/RadeonOpenCompute/llvm-project roc-6.4.0 25133 c7fe45cf4b819c5991fe208aaa96edf142730f1d)"
	.section	".note.GNU-stack","",@progbits
	.addrsig
	.addrsig_sym __hip_cuid_eeda9edbccdda06b
	.amdgpu_metadata
---
amdhsa.kernels:
  - .args:
      - .actual_access:  read_only
        .address_space:  global
        .offset:         0
        .size:           8
        .value_kind:     global_buffer
      - .offset:         8
        .size:           8
        .value_kind:     by_value
      - .actual_access:  read_only
        .address_space:  global
        .offset:         16
        .size:           8
        .value_kind:     global_buffer
      - .actual_access:  read_only
        .address_space:  global
        .offset:         24
        .size:           8
        .value_kind:     global_buffer
      - .actual_access:  read_only
        .address_space:  global
        .offset:         32
        .size:           8
        .value_kind:     global_buffer
      - .offset:         40
        .size:           8
        .value_kind:     by_value
      - .actual_access:  read_only
        .address_space:  global
        .offset:         48
        .size:           8
        .value_kind:     global_buffer
      - .actual_access:  read_only
        .address_space:  global
        .offset:         56
        .size:           8
        .value_kind:     global_buffer
      - .offset:         64
        .size:           4
        .value_kind:     by_value
      - .actual_access:  read_only
        .address_space:  global
        .offset:         72
        .size:           8
        .value_kind:     global_buffer
      - .actual_access:  read_only
        .address_space:  global
        .offset:         80
        .size:           8
        .value_kind:     global_buffer
      - .actual_access:  read_only
        .address_space:  global
        .offset:         88
        .size:           8
        .value_kind:     global_buffer
      - .actual_access:  write_only
        .address_space:  global
        .offset:         96
        .size:           8
        .value_kind:     global_buffer
    .group_segment_fixed_size: 0
    .kernarg_segment_align: 8
    .kernarg_segment_size: 104
    .language:       OpenCL C
    .language_version:
      - 2
      - 0
    .max_flat_workgroup_size: 256
    .name:           fft_rtc_fwd_len1536_factors_16_16_6_wgs_256_tpt_256_halfLds_sp_op_CI_CI_unitstride_sbrr_dirReg
    .private_segment_fixed_size: 0
    .sgpr_count:     41
    .sgpr_spill_count: 0
    .symbol:         fft_rtc_fwd_len1536_factors_16_16_6_wgs_256_tpt_256_halfLds_sp_op_CI_CI_unitstride_sbrr_dirReg.kd
    .uniform_work_group_size: 1
    .uses_dynamic_stack: false
    .vgpr_count:     85
    .vgpr_spill_count: 0
    .wavefront_size: 32
    .workgroup_processor_mode: 1
amdhsa.target:   amdgcn-amd-amdhsa--gfx1201
amdhsa.version:
  - 1
  - 2
...

	.end_amdgpu_metadata
